;; amdgpu-corpus repo=ROCm/rocFFT kind=compiled arch=gfx950 opt=O3
	.text
	.amdgcn_target "amdgcn-amd-amdhsa--gfx950"
	.amdhsa_code_object_version 6
	.protected	fft_rtc_fwd_len600_factors_10_6_10_wgs_60_tpt_60_halfLds_sp_op_CI_CI_unitstride_sbrr_C2R_dirReg ; -- Begin function fft_rtc_fwd_len600_factors_10_6_10_wgs_60_tpt_60_halfLds_sp_op_CI_CI_unitstride_sbrr_C2R_dirReg
	.globl	fft_rtc_fwd_len600_factors_10_6_10_wgs_60_tpt_60_halfLds_sp_op_CI_CI_unitstride_sbrr_C2R_dirReg
	.p2align	8
	.type	fft_rtc_fwd_len600_factors_10_6_10_wgs_60_tpt_60_halfLds_sp_op_CI_CI_unitstride_sbrr_C2R_dirReg,@function
fft_rtc_fwd_len600_factors_10_6_10_wgs_60_tpt_60_halfLds_sp_op_CI_CI_unitstride_sbrr_C2R_dirReg: ; @fft_rtc_fwd_len600_factors_10_6_10_wgs_60_tpt_60_halfLds_sp_op_CI_CI_unitstride_sbrr_C2R_dirReg
; %bb.0:
	s_load_dwordx4 s[4:7], s[0:1], 0x58
	s_load_dwordx4 s[8:11], s[0:1], 0x0
	;; [unrolled: 1-line block ×3, first 2 shown]
	v_mul_u32_u24_e32 v1, 0x445, v0
	v_add_u32_sdwa v6, s2, v1 dst_sel:DWORD dst_unused:UNUSED_PAD src0_sel:DWORD src1_sel:WORD_1
	v_mov_b32_e32 v4, 0
	s_waitcnt lgkmcnt(0)
	v_cmp_lt_u64_e64 s[2:3], s[10:11], 2
	v_mov_b32_e32 v7, v4
	s_and_b64 vcc, exec, s[2:3]
	v_mov_b64_e32 v[2:3], 0
	s_cbranch_vccnz .LBB0_8
; %bb.1:
	s_load_dwordx2 s[2:3], s[0:1], 0x10
	s_add_u32 s16, s14, 8
	s_addc_u32 s17, s15, 0
	s_add_u32 s18, s12, 8
	s_addc_u32 s19, s13, 0
	s_waitcnt lgkmcnt(0)
	s_add_u32 s20, s2, 8
	v_mov_b64_e32 v[2:3], 0
	s_addc_u32 s21, s3, 0
	s_mov_b64 s[22:23], 1
	v_mov_b64_e32 v[20:21], v[2:3]
.LBB0_2:                                ; =>This Inner Loop Header: Depth=1
	s_load_dwordx2 s[24:25], s[20:21], 0x0
                                        ; implicit-def: $vgpr22_vgpr23
	s_waitcnt lgkmcnt(0)
	v_or_b32_e32 v5, s25, v7
	v_cmp_ne_u64_e32 vcc, 0, v[4:5]
	s_and_saveexec_b64 s[2:3], vcc
	s_xor_b64 s[26:27], exec, s[2:3]
	s_cbranch_execz .LBB0_4
; %bb.3:                                ;   in Loop: Header=BB0_2 Depth=1
	v_cvt_f32_u32_e32 v1, s24
	v_cvt_f32_u32_e32 v5, s25
	s_sub_u32 s2, 0, s24
	s_subb_u32 s3, 0, s25
	v_fmac_f32_e32 v1, 0x4f800000, v5
	v_rcp_f32_e32 v1, v1
	s_nop 0
	v_mul_f32_e32 v1, 0x5f7ffffc, v1
	v_mul_f32_e32 v5, 0x2f800000, v1
	v_trunc_f32_e32 v5, v5
	v_fmac_f32_e32 v1, 0xcf800000, v5
	v_cvt_u32_f32_e32 v5, v5
	v_cvt_u32_f32_e32 v1, v1
	v_mul_lo_u32 v8, s2, v5
	v_mul_hi_u32 v10, s2, v1
	v_mul_lo_u32 v9, s3, v1
	v_add_u32_e32 v10, v10, v8
	v_mul_lo_u32 v12, s2, v1
	v_add_u32_e32 v13, v10, v9
	v_mul_hi_u32 v8, v1, v12
	v_mul_hi_u32 v11, v1, v13
	v_mul_lo_u32 v10, v1, v13
	v_mov_b32_e32 v9, v4
	v_lshl_add_u64 v[8:9], v[8:9], 0, v[10:11]
	v_mul_hi_u32 v11, v5, v12
	v_mul_lo_u32 v12, v5, v12
	v_add_co_u32_e32 v8, vcc, v8, v12
	v_mul_hi_u32 v10, v5, v13
	s_nop 0
	v_addc_co_u32_e32 v8, vcc, v9, v11, vcc
	v_mov_b32_e32 v9, v4
	s_nop 0
	v_addc_co_u32_e32 v11, vcc, 0, v10, vcc
	v_mul_lo_u32 v10, v5, v13
	v_lshl_add_u64 v[8:9], v[8:9], 0, v[10:11]
	v_add_co_u32_e32 v1, vcc, v1, v8
	v_mul_lo_u32 v10, s2, v1
	s_nop 0
	v_addc_co_u32_e32 v5, vcc, v5, v9, vcc
	v_mul_lo_u32 v8, s2, v5
	v_mul_hi_u32 v9, s2, v1
	v_add_u32_e32 v8, v9, v8
	v_mul_lo_u32 v9, s3, v1
	v_add_u32_e32 v12, v8, v9
	v_mul_hi_u32 v14, v5, v10
	v_mul_lo_u32 v15, v5, v10
	v_mul_hi_u32 v9, v1, v12
	v_mul_lo_u32 v8, v1, v12
	v_mul_hi_u32 v10, v1, v10
	v_mov_b32_e32 v11, v4
	v_lshl_add_u64 v[8:9], v[10:11], 0, v[8:9]
	v_add_co_u32_e32 v8, vcc, v8, v15
	v_mul_hi_u32 v13, v5, v12
	s_nop 0
	v_addc_co_u32_e32 v8, vcc, v9, v14, vcc
	v_mul_lo_u32 v10, v5, v12
	s_nop 0
	v_addc_co_u32_e32 v11, vcc, 0, v13, vcc
	v_mov_b32_e32 v9, v4
	v_lshl_add_u64 v[8:9], v[8:9], 0, v[10:11]
	v_add_co_u32_e32 v1, vcc, v1, v8
	v_mul_hi_u32 v10, v6, v1
	s_nop 0
	v_addc_co_u32_e32 v5, vcc, v5, v9, vcc
	v_mad_u64_u32 v[8:9], s[2:3], v6, v5, 0
	v_mov_b32_e32 v11, v4
	v_lshl_add_u64 v[8:9], v[10:11], 0, v[8:9]
	v_mad_u64_u32 v[12:13], s[2:3], v7, v1, 0
	v_add_co_u32_e32 v1, vcc, v8, v12
	v_mad_u64_u32 v[10:11], s[2:3], v7, v5, 0
	s_nop 0
	v_addc_co_u32_e32 v8, vcc, v9, v13, vcc
	v_mov_b32_e32 v9, v4
	s_nop 0
	v_addc_co_u32_e32 v11, vcc, 0, v11, vcc
	v_lshl_add_u64 v[8:9], v[8:9], 0, v[10:11]
	v_mul_lo_u32 v1, s25, v8
	v_mul_lo_u32 v5, s24, v9
	v_mad_u64_u32 v[10:11], s[2:3], s24, v8, 0
	v_add3_u32 v1, v11, v5, v1
	v_sub_u32_e32 v5, v7, v1
	v_mov_b32_e32 v11, s25
	v_sub_co_u32_e32 v14, vcc, v6, v10
	v_lshl_add_u64 v[12:13], v[8:9], 0, 1
	s_nop 0
	v_subb_co_u32_e64 v5, s[2:3], v5, v11, vcc
	v_subrev_co_u32_e64 v10, s[2:3], s24, v14
	v_subb_co_u32_e32 v1, vcc, v7, v1, vcc
	s_nop 0
	v_subbrev_co_u32_e64 v5, s[2:3], 0, v5, s[2:3]
	v_cmp_le_u32_e64 s[2:3], s25, v5
	v_cmp_le_u32_e32 vcc, s25, v1
	s_nop 0
	v_cndmask_b32_e64 v11, 0, -1, s[2:3]
	v_cmp_le_u32_e64 s[2:3], s24, v10
	s_nop 1
	v_cndmask_b32_e64 v10, 0, -1, s[2:3]
	v_cmp_eq_u32_e64 s[2:3], s25, v5
	s_nop 1
	v_cndmask_b32_e64 v5, v11, v10, s[2:3]
	v_lshl_add_u64 v[10:11], v[8:9], 0, 2
	v_cmp_ne_u32_e64 s[2:3], 0, v5
	s_nop 1
	v_cndmask_b32_e64 v5, v13, v11, s[2:3]
	v_cndmask_b32_e64 v11, 0, -1, vcc
	v_cmp_le_u32_e32 vcc, s24, v14
	s_nop 1
	v_cndmask_b32_e64 v13, 0, -1, vcc
	v_cmp_eq_u32_e32 vcc, s25, v1
	s_nop 1
	v_cndmask_b32_e32 v1, v11, v13, vcc
	v_cmp_ne_u32_e32 vcc, 0, v1
	v_cndmask_b32_e64 v1, v12, v10, s[2:3]
	s_nop 0
	v_cndmask_b32_e32 v23, v9, v5, vcc
	v_cndmask_b32_e32 v22, v8, v1, vcc
.LBB0_4:                                ;   in Loop: Header=BB0_2 Depth=1
	s_andn2_saveexec_b64 s[2:3], s[26:27]
	s_cbranch_execz .LBB0_6
; %bb.5:                                ;   in Loop: Header=BB0_2 Depth=1
	v_cvt_f32_u32_e32 v1, s24
	s_sub_i32 s26, 0, s24
	v_mov_b32_e32 v23, v4
	v_rcp_iflag_f32_e32 v1, v1
	s_nop 0
	v_mul_f32_e32 v1, 0x4f7ffffe, v1
	v_cvt_u32_f32_e32 v1, v1
	v_mul_lo_u32 v5, s26, v1
	v_mul_hi_u32 v5, v1, v5
	v_add_u32_e32 v1, v1, v5
	v_mul_hi_u32 v1, v6, v1
	v_mul_lo_u32 v5, v1, s24
	v_sub_u32_e32 v5, v6, v5
	v_add_u32_e32 v8, 1, v1
	v_subrev_u32_e32 v9, s24, v5
	v_cmp_le_u32_e32 vcc, s24, v5
	s_nop 1
	v_cndmask_b32_e32 v5, v5, v9, vcc
	v_cndmask_b32_e32 v1, v1, v8, vcc
	v_add_u32_e32 v8, 1, v1
	v_cmp_le_u32_e32 vcc, s24, v5
	s_nop 1
	v_cndmask_b32_e32 v22, v1, v8, vcc
.LBB0_6:                                ;   in Loop: Header=BB0_2 Depth=1
	s_or_b64 exec, exec, s[2:3]
	v_mad_u64_u32 v[8:9], s[2:3], v22, s24, 0
	s_load_dwordx2 s[2:3], s[18:19], 0x0
	v_mul_lo_u32 v1, v23, s24
	v_mul_lo_u32 v5, v22, s25
	s_load_dwordx2 s[24:25], s[16:17], 0x0
	s_add_u32 s22, s22, 1
	v_add3_u32 v1, v9, v5, v1
	v_sub_co_u32_e32 v5, vcc, v6, v8
	s_addc_u32 s23, s23, 0
	s_nop 0
	v_subb_co_u32_e32 v1, vcc, v7, v1, vcc
	s_add_u32 s16, s16, 8
	s_waitcnt lgkmcnt(0)
	v_mul_lo_u32 v6, s2, v1
	v_mul_lo_u32 v7, s3, v5
	v_mad_u64_u32 v[2:3], s[2:3], s2, v5, v[2:3]
	s_addc_u32 s17, s17, 0
	v_add3_u32 v3, v7, v3, v6
	v_mul_lo_u32 v1, s24, v1
	v_mul_lo_u32 v6, s25, v5
	v_mad_u64_u32 v[20:21], s[2:3], s24, v5, v[20:21]
	s_add_u32 s18, s18, 8
	v_add3_u32 v21, v6, v21, v1
	s_addc_u32 s19, s19, 0
	v_mov_b64_e32 v[6:7], s[10:11]
	s_add_u32 s20, s20, 8
	v_cmp_ge_u64_e32 vcc, s[22:23], v[6:7]
	s_addc_u32 s21, s21, 0
	s_cbranch_vccnz .LBB0_9
; %bb.7:                                ;   in Loop: Header=BB0_2 Depth=1
	v_mov_b64_e32 v[6:7], v[22:23]
	s_branch .LBB0_2
.LBB0_8:
	v_mov_b64_e32 v[20:21], v[2:3]
	v_mov_b64_e32 v[22:23], v[6:7]
.LBB0_9:
	s_load_dwordx2 s[18:19], s[0:1], 0x28
	s_lshl_b64 s[16:17], s[10:11], 3
	s_add_u32 s2, s14, s16
	s_addc_u32 s3, s15, s17
                                        ; implicit-def: $vgpr24
	s_waitcnt lgkmcnt(0)
	v_cmp_gt_u64_e64 s[0:1], s[18:19], v[22:23]
	v_cmp_le_u64_e32 vcc, s[18:19], v[22:23]
	s_and_saveexec_b64 s[10:11], vcc
	s_xor_b64 s[10:11], exec, s[10:11]
; %bb.10:
	s_mov_b32 s14, 0x4444445
	v_mul_hi_u32 v1, v0, s14
	v_mul_u32_u24_e32 v1, 60, v1
	v_sub_u32_e32 v24, v0, v1
                                        ; implicit-def: $vgpr0
                                        ; implicit-def: $vgpr2_vgpr3
; %bb.11:
	s_or_saveexec_b64 s[10:11], s[10:11]
	s_load_dwordx2 s[2:3], s[2:3], 0x0
	s_xor_b64 exec, exec, s[10:11]
	s_cbranch_execz .LBB0_15
; %bb.12:
	s_add_u32 s12, s12, s16
	s_addc_u32 s13, s13, s17
	s_load_dwordx2 s[12:13], s[12:13], 0x0
	s_mov_b32 s14, 0x4444445
	s_waitcnt lgkmcnt(0)
	v_mul_lo_u32 v1, s13, v22
	v_mul_lo_u32 v6, s12, v23
	v_mad_u64_u32 v[4:5], s[12:13], s12, v22, 0
	v_add3_u32 v5, v5, v6, v1
	v_mul_hi_u32 v1, v0, s14
	v_mul_u32_u24_e32 v1, 60, v1
	v_sub_u32_e32 v24, v0, v1
	v_lshl_add_u64 v[0:1], v[4:5], 3, s[4:5]
	v_lshl_add_u64 v[2:3], v[2:3], 3, v[0:1]
	v_lshlrev_b32_e32 v0, 3, v24
	v_mov_b32_e32 v1, 0
	v_lshl_add_u64 v[4:5], v[2:3], 0, v[0:1]
	v_add_co_u32_e32 v28, vcc, 0x1000, v4
	global_load_dwordx2 v[6:7], v[4:5], off
	global_load_dwordx2 v[8:9], v[4:5], off offset:480
	global_load_dwordx2 v[10:11], v[4:5], off offset:960
	;; [unrolled: 1-line block ×7, first 2 shown]
	v_addc_co_u32_e32 v29, vcc, 0, v5, vcc
	global_load_dwordx2 v[30:31], v[4:5], off offset:3840
	global_load_dwordx2 v[32:33], v[28:29], off offset:224
	v_add_u32_e32 v0, 0, v0
	v_cmp_eq_u32_e32 vcc, 59, v24
	v_add_u32_e32 v4, 0x400, v0
	v_add_u32_e32 v5, 0x800, v0
	;; [unrolled: 1-line block ×3, first 2 shown]
	s_waitcnt vmcnt(8)
	ds_write2_b64 v0, v[6:7], v[8:9] offset1:60
	s_waitcnt vmcnt(6)
	ds_write2_b64 v0, v[10:11], v[12:13] offset0:120 offset1:180
	s_waitcnt vmcnt(4)
	ds_write2_b64 v4, v[14:15], v[16:17] offset0:112 offset1:172
	;; [unrolled: 2-line block ×4, first 2 shown]
	s_and_saveexec_b64 s[4:5], vcc
	s_cbranch_execz .LBB0_14
; %bb.13:
	v_add_co_u32_e32 v2, vcc, 0x1000, v2
	v_mov_b32_e32 v24, 59
	s_nop 0
	v_addc_co_u32_e32 v3, vcc, 0, v3, vcc
	global_load_dwordx2 v[2:3], v[2:3], off offset:704
	s_waitcnt vmcnt(0)
	ds_write_b64 v1, v[2:3] offset:4800
.LBB0_14:
	s_or_b64 exec, exec, s[4:5]
.LBB0_15:
	s_or_b64 exec, exec, s[10:11]
	v_lshlrev_b32_e32 v0, 3, v24
	v_add_u32_e32 v30, 0, v0
	s_waitcnt lgkmcnt(0)
	; wave barrier
	s_waitcnt lgkmcnt(0)
	v_sub_u32_e32 v4, 0, v0
	ds_read_b32 v1, v30
	ds_read_b32 v2, v4 offset:4800
	s_add_u32 s4, s8, 0x1270
	s_addc_u32 s5, s9, 0
	v_cmp_ne_u32_e32 vcc, 0, v24
	s_waitcnt lgkmcnt(0)
	v_add_f32_e32 v0, v2, v1
	v_sub_f32_e32 v1, v1, v2
                                        ; implicit-def: $vgpr2_vgpr3
	s_and_saveexec_b64 s[10:11], vcc
	s_xor_b64 s[10:11], exec, s[10:11]
	s_cbranch_execz .LBB0_17
; %bb.16:
	v_mov_b32_e32 v25, 0
	v_lshl_add_u64 v[2:3], v[24:25], 3, s[4:5]
	global_load_dwordx2 v[6:7], v[2:3], off
	ds_read_b32 v5, v4 offset:4804
	ds_read_b32 v11, v30 offset:4
	v_mov_b32_e32 v8, v1
	v_mov_b32_e32 v10, v0
	;; [unrolled: 1-line block ×3, first 2 shown]
	v_mov_b64_e32 v[2:3], v[24:25]
	s_waitcnt lgkmcnt(0)
	v_add_f32_e32 v9, v5, v11
	v_sub_f32_e32 v11, v11, v5
	v_mov_b32_e32 v12, v9
	s_waitcnt vmcnt(0)
	v_pk_mul_f32 v[14:15], v[8:9], v[6:7] op_sel:[0,1]
	v_pk_fma_f32 v[8:9], v[8:9], v[6:7], v[10:11] op_sel:[0,1,0]
	v_mov_b32_e32 v1, v15
	v_mov_b32_e32 v15, v11
	v_pk_fma_f32 v[16:17], v[6:7], v[12:13], v[8:9] neg_lo:[1,0,0] neg_hi:[1,0,0]
	v_pk_fma_f32 v[8:9], v[6:7], v[12:13], v[8:9] op_sel_hi:[0,1,1]
	v_pk_add_f32 v[0:1], v[0:1], v[14:15] neg_lo:[0,1] neg_hi:[0,1]
	v_mov_b32_e32 v17, v9
	v_pk_fma_f32 v[0:1], v[6:7], v[12:13], v[0:1] op_sel_hi:[0,1,1]
	ds_write_b64 v4, v[0:1] offset:4800
	v_mov_b64_e32 v[0:1], v[16:17]
.LBB0_17:
	s_andn2_saveexec_b64 s[10:11], s[10:11]
	s_cbranch_execz .LBB0_19
; %bb.18:
	v_mov_b32_e32 v5, 0
	ds_read_b64 v[2:3], v5 offset:2400
	s_mov_b32 s12, 2.0
	s_mov_b32 s13, -2.0
	s_waitcnt lgkmcnt(0)
	v_pk_mul_f32 v[2:3], v[2:3], s[12:13]
	ds_write_b64 v5, v[2:3] offset:2400
	v_mov_b64_e32 v[2:3], 0
.LBB0_19:
	s_or_b64 exec, exec, s[10:11]
	v_lshl_add_u64 v[2:3], v[2:3], 3, s[4:5]
	global_load_dwordx2 v[6:7], v[2:3], off offset:480
	global_load_dwordx2 v[8:9], v[2:3], off offset:960
	;; [unrolled: 1-line block ×4, first 2 shown]
	ds_write_b64 v30, v[0:1]
	ds_read_b64 v[0:1], v4 offset:4320
	ds_read_b64 v[2:3], v30 offset:480
	v_add_u32_e32 v64, 0x400, v30
	v_add_u32_e32 v25, 0x800, v30
	;; [unrolled: 1-line block ×3, first 2 shown]
	s_mov_b32 s10, 0x3f737871
	s_waitcnt lgkmcnt(0)
	v_pk_add_f32 v[14:15], v[2:3], v[0:1]
	v_pk_add_f32 v[0:1], v[2:3], v[0:1] neg_lo:[0,1] neg_hi:[0,1]
	v_mov_b32_e32 v2, v15
	v_mov_b32_e32 v3, v0
	;; [unrolled: 1-line block ×3, first 2 shown]
	s_mov_b32 s12, 0x3f167918
	s_mov_b32 s4, 0x3e9e377a
	s_mov_b32 s14, 0xbf167918
	s_mov_b32 s15, 0x3f4f1bbd
	v_cmp_gt_u32_e32 vcc, 40, v24
	s_waitcnt vmcnt(3)
	v_pk_mul_f32 v[16:17], v[2:3], v[6:7] op_sel:[0,1]
	s_nop 0
	v_pk_add_f32 v[18:19], v[14:15], v[16:17] op_sel:[0,1] op_sel_hi:[1,0]
	v_mov_b32_e32 v15, v16
	v_mov_b32_e32 v0, v17
	v_pk_fma_f32 v[16:17], v[6:7], v[2:3], v[18:19] neg_lo:[1,0,0] neg_hi:[1,0,0]
	v_pk_fma_f32 v[18:19], v[6:7], v[2:3], v[18:19] op_sel_hi:[0,1,1]
	v_pk_add_f32 v[0:1], v[14:15], v[0:1] neg_lo:[0,1] neg_hi:[0,1]
	v_mov_b32_e32 v17, v19
	v_pk_fma_f32 v[0:1], v[6:7], v[2:3], v[0:1] op_sel_hi:[0,1,1]
	ds_write_b64 v30, v[16:17] offset:480
	ds_write_b64 v4, v[0:1] offset:4320
	ds_read_b64 v[0:1], v4 offset:3840
	ds_read_b64 v[2:3], v30 offset:960
	s_waitcnt lgkmcnt(0)
	v_pk_add_f32 v[6:7], v[2:3], v[0:1]
	v_pk_add_f32 v[0:1], v[2:3], v[0:1] neg_lo:[0,1] neg_hi:[0,1]
	v_mov_b32_e32 v2, v7
	v_mov_b32_e32 v3, v0
	v_mov_b32_e32 v7, v1
	s_waitcnt vmcnt(2)
	v_pk_mul_f32 v[14:15], v[2:3], v[8:9] op_sel:[0,1]
	s_nop 0
	v_pk_add_f32 v[16:17], v[6:7], v[14:15] op_sel:[0,1] op_sel_hi:[1,0]
	v_mov_b32_e32 v7, v14
	v_mov_b32_e32 v0, v15
	v_pk_fma_f32 v[14:15], v[8:9], v[2:3], v[16:17] neg_lo:[1,0,0] neg_hi:[1,0,0]
	v_pk_fma_f32 v[16:17], v[8:9], v[2:3], v[16:17] op_sel_hi:[0,1,1]
	v_pk_add_f32 v[0:1], v[6:7], v[0:1] neg_lo:[0,1] neg_hi:[0,1]
	v_mov_b32_e32 v15, v17
	v_pk_fma_f32 v[0:1], v[8:9], v[2:3], v[0:1] op_sel_hi:[0,1,1]
	ds_write_b64 v30, v[14:15] offset:960
	ds_write_b64 v4, v[0:1] offset:3840
	ds_read_b64 v[0:1], v4 offset:3360
	ds_read_b64 v[2:3], v30 offset:1440
	s_waitcnt lgkmcnt(0)
	v_pk_add_f32 v[6:7], v[2:3], v[0:1]
	v_pk_add_f32 v[0:1], v[2:3], v[0:1] neg_lo:[0,1] neg_hi:[0,1]
	v_mov_b32_e32 v2, v7
	v_mov_b32_e32 v3, v0
	v_mov_b32_e32 v7, v1
	;; [unrolled: 21-line block ×3, first 2 shown]
	s_waitcnt vmcnt(0)
	v_pk_mul_f32 v[8:9], v[2:3], v[12:13] op_sel:[0,1]
	s_nop 0
	v_pk_add_f32 v[10:11], v[6:7], v[8:9] op_sel:[0,1] op_sel_hi:[1,0]
	v_mov_b32_e32 v7, v8
	v_mov_b32_e32 v0, v9
	v_pk_fma_f32 v[8:9], v[12:13], v[2:3], v[10:11] neg_lo:[1,0,0] neg_hi:[1,0,0]
	v_pk_fma_f32 v[10:11], v[12:13], v[2:3], v[10:11] op_sel_hi:[0,1,1]
	v_pk_add_f32 v[0:1], v[6:7], v[0:1] neg_lo:[0,1] neg_hi:[0,1]
	v_mov_b32_e32 v9, v11
	v_pk_fma_f32 v[0:1], v[12:13], v[2:3], v[0:1] op_sel_hi:[0,1,1]
	ds_write_b64 v30, v[8:9] offset:1920
	ds_write_b64 v4, v[0:1] offset:2880
	s_waitcnt lgkmcnt(0)
	; wave barrier
	s_waitcnt lgkmcnt(0)
	s_waitcnt lgkmcnt(0)
	; wave barrier
	s_waitcnt lgkmcnt(0)
	ds_read2_b64 v[14:17], v30 offset0:120 offset1:180
	ds_read2_b64 v[2:5], v64 offset0:112 offset1:172
	;; [unrolled: 1-line block ×4, first 2 shown]
	ds_read2_b64 v[26:29], v30 offset1:60
	s_waitcnt lgkmcnt(4)
	v_mov_b32_e32 v46, v17
	s_waitcnt lgkmcnt(3)
	v_pk_add_f32 v[34:35], v[16:17], v[4:5] neg_lo:[0,1] neg_hi:[0,1]
	s_waitcnt lgkmcnt(2)
	v_pk_add_f32 v[0:1], v[4:5], v[8:9]
	s_waitcnt lgkmcnt(1)
	v_pk_add_f32 v[18:19], v[16:17], v[12:13] neg_lo:[0,1] neg_hi:[0,1]
	v_pk_add_f32 v[32:33], v[4:5], v[8:9] neg_lo:[0,1] neg_hi:[0,1]
	;; [unrolled: 1-line block ×3, first 2 shown]
	v_mov_b32_e32 v44, v5
	v_mov_b32_e32 v45, v9
	;; [unrolled: 1-line block ×3, first 2 shown]
	s_waitcnt lgkmcnt(0)
	v_pk_fma_f32 v[0:1], v[0:1], 0.5, v[28:29] op_sel_hi:[1,0,1] neg_lo:[1,0,0] neg_hi:[1,0,0]
	v_pk_mul_f32 v[50:51], v[18:19], s[10:11] op_sel_hi:[1,0]
	v_pk_mul_f32 v[52:53], v[32:33], s[12:13] op_sel_hi:[1,0]
	v_pk_add_f32 v[34:35], v[34:35], v[36:37]
	v_mov_b32_e32 v36, v19
	v_mov_b32_e32 v37, v33
	;; [unrolled: 1-line block ×3, first 2 shown]
	v_pk_add_f32 v[32:33], v[44:45], v[46:47] neg_lo:[0,1] neg_hi:[0,1]
	v_pk_add_f32 v[44:45], v[0:1], v[50:51] op_sel:[0,1] op_sel_hi:[1,0]
	v_pk_add_f32 v[0:1], v[0:1], v[50:51] op_sel:[0,1] op_sel_hi:[1,0] neg_lo:[0,1] neg_hi:[0,1]
	v_mov_b32_e32 v40, v4
	v_mov_b32_e32 v41, v8
	;; [unrolled: 1-line block ×4, first 2 shown]
	v_pk_add_f32 v[48:49], v[2:3], v[6:7]
	v_pk_add_f32 v[44:45], v[52:53], v[44:45] op_sel:[1,0] op_sel_hi:[0,1]
	v_pk_add_f32 v[0:1], v[0:1], v[52:53] op_sel:[0,1] op_sel_hi:[1,0] neg_lo:[0,1] neg_hi:[0,1]
	v_pk_add_f32 v[40:41], v[40:41], v[42:43] neg_lo:[0,1] neg_hi:[0,1]
	v_pk_fma_f32 v[42:43], v[48:49], 0.5, v[26:27] op_sel_hi:[1,0,1] neg_lo:[1,0,0] neg_hi:[1,0,0]
	v_mov_b32_e32 v47, v32
	v_pk_fma_f32 v[48:49], v[34:35], s[4:5], v[0:1] op_sel_hi:[1,0,1]
	v_mov_b32_e32 v1, v45
	v_pk_add_f32 v[32:33], v[46:47], v[32:33]
	v_pk_fma_f32 v[46:47], v[34:35], s[4:5], v[44:45] op_sel_hi:[1,0,1]
	v_pk_fma_f32 v[0:1], v[34:35], s[4:5], v[0:1] op_sel_hi:[1,0,1]
	v_pk_add_f32 v[34:35], v[14:15], v[10:11] neg_lo:[0,1] neg_hi:[0,1]
	v_pk_add_f32 v[54:55], v[14:15], v[2:3] neg_lo:[0,1] neg_hi:[0,1]
	;; [unrolled: 1-line block ×3, first 2 shown]
	v_pk_add_f32 v[38:39], v[16:17], v[12:13]
	s_mov_b32 s13, s10
	v_pk_mul_f32 v[44:45], v[34:35], s[10:11] op_sel_hi:[1,0]
	v_pk_add_f32 v[54:55], v[54:55], v[56:57]
	v_mov_b32_e32 v56, v2
	v_mov_b32_e32 v57, v6
	;; [unrolled: 1-line block ×4, first 2 shown]
	v_fma_f32 v38, -0.5, v38, v28
	v_pk_mul_f32 v[36:37], v[36:37], s[12:13]
	v_pk_add_f32 v[50:51], v[2:3], v[6:7] neg_lo:[0,1] neg_hi:[0,1]
	v_pk_add_f32 v[56:57], v[56:57], v[58:59] neg_lo:[0,1] neg_hi:[0,1]
	v_pk_add_f32 v[58:59], v[42:43], v[44:45] op_sel:[0,1] op_sel_hi:[1,0]
	v_pk_add_f32 v[42:43], v[42:43], v[44:45] op_sel:[0,1] op_sel_hi:[1,0] neg_lo:[0,1] neg_hi:[0,1]
	v_pk_add_f32 v[44:45], v[14:15], v[10:11]
	v_sub_f32_e32 v60, v38, v37
	v_pk_mul_f32 v[52:53], v[50:51], s[12:13] op_sel_hi:[1,0]
	v_mov_b32_e32 v32, v57
	v_fma_f32 v61, -0.5, v44, v26
	v_pk_add_f32 v[56:57], v[56:57], v[32:33]
	v_pk_add_f32 v[42:43], v[42:43], v[52:53] op_sel:[0,1] op_sel_hi:[1,0] neg_lo:[0,1] neg_hi:[0,1]
	v_pk_add_f32 v[52:53], v[58:59], v[52:53] op_sel:[0,1] op_sel_hi:[1,0]
	v_fmamk_f32 v62, v51, 0xbf737871, v61
	v_fmac_f32_e32 v61, 0x3f737871, v51
	v_mov_b32_e32 v51, v33
	v_add_f32_e32 v33, v36, v60
	v_add_f32_e32 v59, v37, v38
	v_mov_b32_e32 v58, v3
	v_mov_b32_e32 v37, v36
	;; [unrolled: 1-line block ×3, first 2 shown]
	v_pk_add_f32 v[36:37], v[58:59], v[36:37] neg_lo:[0,1] neg_hi:[0,1]
	v_pk_mul_f32 v[58:59], v[18:19], s[12:13]
	v_fma_f32 v38, -0.5, v39, v29
	v_mov_b32_e32 v39, v41
	v_mov_b32_e32 v41, v40
	;; [unrolled: 1-line block ×3, first 2 shown]
	v_sub_f32_e32 v32, v38, v59
	s_mov_b32 s11, s4
	v_pk_add_f32 v[38:39], v[40:41], v[38:39]
	v_mov_b32_e32 v59, 0x3e9e377a
	v_mov_b32_e32 v57, v35
	s_mov_b32 s5, s12
	v_pk_mul_f32 v[40:41], v[50:51], s[10:11]
	v_pk_fma_f32 v[18:19], v[18:19], s[12:13], v[38:39] neg_lo:[1,0,0] neg_hi:[1,0,0]
	v_pk_mul_f32 v[38:39], v[38:39], v[58:59]
	v_fma_f32 v44, -0.5, v45, v27
	v_add_f32_e32 v45, v58, v32
	v_pk_mul_f32 v[56:57], v[56:57], s[4:5]
	v_mov_b32_e32 v19, v39
	v_mov_b32_e32 v32, v41
	v_pk_add_f32 v[18:19], v[32:33], v[18:19]
	v_sub_f32_e32 v33, v61, v57
	v_add_f32_e32 v32, v57, v62
	v_add_f32_e32 v58, v56, v33
	v_mul_f32_e32 v57, 0x3e9e377a, v19
	v_mul_f32_e32 v33, 0x3f737871, v18
	v_pk_add_f32 v[32:33], v[56:57], v[32:33]
	v_pk_add_f32 v[56:57], v[6:7], v[10:11] neg_lo:[0,1] neg_hi:[0,1]
	v_mul_f32_e32 v60, 0x3f167918, v1
	v_mov_b32_e32 v38, v57
	v_mov_b32_e32 v56, v52
	;; [unrolled: 1-line block ×3, first 2 shown]
	v_pk_fma_f32 v[56:57], v[54:55], s[4:5], v[56:57] op_sel_hi:[1,0,1]
	s_mov_b32 s5, s10
	v_pk_add_f32 v[36:37], v[36:37], v[38:39]
	v_pk_mul_f32 v[38:39], v[18:19], s[4:5]
	v_pk_mul_f32 v[62:63], v[0:1], s[14:15]
	v_mov_b32_e32 v35, v38
	v_pk_fma_f32 v[18:19], v[18:19], s[4:5], v[34:35] neg_lo:[1,0,0] neg_hi:[1,0,0]
	v_pk_fma_f32 v[38:39], v[50:51], s[10:11], v[44:45] neg_lo:[1,0,0] neg_hi:[1,0,0]
	v_pk_fma_f32 v[50:51], v[50:51], s[10:11], v[44:45]
	v_add_f32_e32 v35, v40, v44
	v_mul_f32_e32 v44, 0x3f167918, v34
	v_mov_b32_e32 v45, v59
	v_mul_f32_e32 v18, 0x3e9e377a, v37
	v_mul_f32_e32 v40, 0x3f4f1bbd, v0
	s_mov_b32 s5, 0xbf737871
	v_pk_add_f32 v[0:1], v[38:39], v[44:45]
	v_fma_f32 v38, v51, s10, -v18
	v_pk_mul_f32 v[44:45], v[50:51], s[10:11]
	s_mov_b32 s10, s15
	s_mov_b32 s11, s12
	v_pk_add_f32 v[16:17], v[28:29], v[16:17]
	v_pk_add_f32 v[14:15], v[26:27], v[14:15]
	v_fmac_f32_e32 v35, 0xbf167918, v34
	v_mov_b32_e32 v44, v0
	v_pk_fma_f32 v[50:51], v[36:37], s[4:5], v[0:1]
	v_pk_mul_f32 v[0:1], v[46:47], s[10:11] op_sel_hi:[0,1]
	s_mov_b32 s13, s15
	v_pk_add_f32 v[4:5], v[16:17], v[4:5]
	v_pk_add_f32 v[2:3], v[14:15], v[2:3]
	v_fmac_f32_e32 v35, 0x3e9e377a, v36
	v_pk_fma_f32 v[36:37], v[36:37], s[4:5], v[44:45] neg_lo:[0,0,1] neg_hi:[0,0,1]
	v_pk_fma_f32 v[44:45], v[48:49], s[12:13], v[0:1] op_sel:[1,0,0]
	v_pk_fma_f32 v[0:1], v[48:49], s[12:13], v[0:1] op_sel:[1,0,0] neg_lo:[0,0,1] neg_hi:[0,0,1]
	v_pk_add_f32 v[4:5], v[4:5], v[8:9]
	v_pk_add_f32 v[2:3], v[2:3], v[6:7]
	v_mov_b32_e32 v45, v1
	s_movk_i32 s5, 0x48
	v_pk_add_f32 v[4:5], v[4:5], v[12:13]
	v_pk_add_f32 v[2:3], v[2:3], v[10:11]
	v_mad_u32_u24 v36, v24, s5, v30
	v_pk_add_f32 v[6:7], v[2:3], v[4:5]
	v_pk_add_f32 v[8:9], v[56:57], v[44:45]
	v_mov_b32_e32 v34, v32
	v_mov_b32_e32 v18, v33
	;; [unrolled: 1-line block ×4, first 2 shown]
	s_waitcnt lgkmcnt(0)
	; wave barrier
	ds_write2_b64 v36, v[6:7], v[8:9] offset1:1
	v_pk_add_f32 v[6:7], v[34:35], v[18:19]
	v_pk_add_f32 v[8:9], v[58:59], v[38:39]
	v_mov_b32_e32 v61, v62
	v_mov_b32_e32 v41, v63
	;; [unrolled: 1-line block ×3, first 2 shown]
	ds_write2_b64 v36, v[6:7], v[8:9] offset0:2 offset1:3
	v_pk_add_f32 v[6:7], v[60:61], v[40:41] neg_lo:[0,1] neg_hi:[0,1]
	v_pk_fma_f32 v[8:9], v[54:55], s[4:5], v[42:43] op_sel_hi:[1,0,1]
	v_pk_add_f32 v[2:3], v[2:3], v[4:5] neg_lo:[0,1] neg_hi:[0,1]
	v_pk_add_f32 v[10:11], v[8:9], v[6:7]
	v_pk_add_f32 v[0:1], v[56:57], v[44:45] neg_lo:[0,1] neg_hi:[0,1]
	ds_write2_b64 v36, v[10:11], v[2:3] offset0:4 offset1:5
	v_pk_add_f32 v[2:3], v[34:35], v[18:19] neg_lo:[0,1] neg_hi:[0,1]
	v_pk_add_f32 v[28:29], v[58:59], v[38:39] neg_lo:[0,1] neg_hi:[0,1]
	v_pk_add_f32 v[26:27], v[8:9], v[6:7] neg_lo:[0,1] neg_hi:[0,1]
	ds_write2_b64 v36, v[0:1], v[2:3] offset0:6 offset1:7
	ds_write2_b64 v36, v[28:29], v[26:27] offset0:8 offset1:9
	s_waitcnt lgkmcnt(0)
	; wave barrier
	s_waitcnt lgkmcnt(0)
	ds_read2_b64 v[8:11], v30 offset1:100
	ds_read2_b64 v[16:19], v64 offset0:72 offset1:172
	ds_read2_b64 v[12:15], v25 offset0:144 offset1:244
                                        ; implicit-def: $vgpr6
	s_and_saveexec_b64 s[4:5], vcc
	s_cbranch_execz .LBB0_21
; %bb.20:
	ds_read2_b64 v[0:3], v30 offset0:60 offset1:160
	ds_read_b64 v[28:29], v30 offset:2080
	ds_read2_b32 v[26:27], v25 offset0:208 offset1:209
	ds_read2_b64 v[4:7], v31 offset0:76 offset1:176
.LBB0_21:
	s_or_b64 exec, exec, s[4:5]
	s_movk_i32 s12, 0xcd
	v_mul_lo_u16_sdwa v25, v24, s12 dst_sel:DWORD dst_unused:UNUSED_PAD src0_sel:BYTE_0 src1_sel:DWORD
	v_lshrrev_b16_e32 v42, 11, v25
	v_mul_lo_u16_e32 v25, 10, v42
	v_sub_u16_e32 v43, v24, v25
	v_mov_b32_e32 v31, 5
	v_mul_u32_u24_sdwa v25, v43, v31 dst_sel:DWORD dst_unused:UNUSED_PAD src0_sel:BYTE_0 src1_sel:DWORD
	v_lshlrev_b32_e32 v25, 3, v25
	global_load_dwordx4 v[32:35], v25, s[8:9]
	global_load_dwordx4 v[36:39], v25, s[8:9] offset:16
	global_load_dwordx2 v[40:41], v25, s[8:9] offset:32
	v_mov_b32_e32 v25, 3
	v_mul_u32_u24_e32 v42, 0x1e0, v42
	v_lshlrev_b32_sdwa v43, v25, v43 dst_sel:DWORD dst_unused:UNUSED_PAD src0_sel:DWORD src1_sel:BYTE_0
	v_add3_u32 v54, 0, v42, v43
	s_mov_b32 s4, 0x3f5db3d7
	s_mov_b32 s5, 0xbf5db3d7
	s_waitcnt lgkmcnt(0)
	; wave barrier
	s_waitcnt vmcnt(2) lgkmcnt(0)
	v_pk_mul_f32 v[42:43], v[32:33], v[10:11] op_sel:[0,1]
	v_pk_mul_f32 v[44:45], v[34:35], v[16:17] op_sel:[0,1]
	s_waitcnt vmcnt(1)
	v_pk_mul_f32 v[46:47], v[36:37], v[18:19] op_sel:[0,1]
	v_pk_mul_f32 v[48:49], v[38:39], v[12:13] op_sel:[0,1]
	s_waitcnt vmcnt(0)
	v_pk_mul_f32 v[50:51], v[40:41], v[14:15] op_sel:[0,1]
	v_pk_fma_f32 v[52:53], v[32:33], v[10:11], v[42:43] op_sel:[0,0,1] op_sel_hi:[1,1,0] neg_lo:[0,0,1] neg_hi:[0,0,1]
	v_pk_fma_f32 v[10:11], v[32:33], v[10:11], v[42:43] op_sel:[0,0,1] op_sel_hi:[1,0,0]
	v_pk_fma_f32 v[32:33], v[34:35], v[16:17], v[44:45] op_sel:[0,0,1] op_sel_hi:[1,1,0] neg_lo:[0,0,1] neg_hi:[0,0,1]
	v_pk_fma_f32 v[16:17], v[34:35], v[16:17], v[44:45] op_sel:[0,0,1] op_sel_hi:[1,0,0]
	;; [unrolled: 2-line block ×5, first 2 shown]
	v_mov_b32_e32 v33, v17
	v_mov_b32_e32 v35, v19
	;; [unrolled: 1-line block ×5, first 2 shown]
	v_pk_add_f32 v[14:15], v[32:33], v[36:37]
	v_pk_add_f32 v[16:17], v[32:33], v[36:37] neg_lo:[0,1] neg_hi:[0,1]
	v_pk_add_f32 v[18:19], v[34:35], v[38:39]
	v_pk_add_f32 v[10:11], v[8:9], v[32:33]
	;; [unrolled: 1-line block ×3, first 2 shown]
	v_pk_add_f32 v[32:33], v[34:35], v[38:39] neg_lo:[0,1] neg_hi:[0,1]
	v_pk_fma_f32 v[8:9], v[14:15], 0.5, v[8:9] op_sel_hi:[1,0,1] neg_lo:[1,0,0] neg_hi:[1,0,0]
	v_pk_mul_f32 v[14:15], v[16:17], s[4:5] op_sel_hi:[1,0]
	v_pk_fma_f32 v[16:17], v[18:19], 0.5, v[52:53] op_sel_hi:[1,0,1] neg_lo:[1,0,0] neg_hi:[1,0,0]
	v_pk_add_f32 v[10:11], v[10:11], v[36:37]
	v_pk_add_f32 v[12:13], v[12:13], v[38:39]
	v_pk_add_f32 v[34:35], v[14:15], v[8:9] op_sel:[1,0] op_sel_hi:[0,1]
	v_pk_add_f32 v[8:9], v[8:9], v[14:15] op_sel:[0,1] op_sel_hi:[1,0] neg_lo:[0,1] neg_hi:[0,1]
	v_pk_fma_f32 v[14:15], v[32:33], s[4:5], v[16:17] op_sel:[0,0,1] op_sel_hi:[1,0,0]
	v_pk_fma_f32 v[16:17], v[32:33], s[4:5], v[16:17] op_sel:[0,0,1] op_sel_hi:[1,0,0] neg_lo:[1,0,0] neg_hi:[1,0,0]
	v_pk_add_f32 v[18:19], v[10:11], v[12:13]
	v_pk_add_f32 v[10:11], v[10:11], v[12:13] neg_lo:[0,1] neg_hi:[0,1]
	v_mov_b32_e32 v12, v8
	v_mov_b32_e32 v32, v14
	;; [unrolled: 1-line block ×3, first 2 shown]
	v_mul_f32_e32 v8, 0x3f5db3d7, v16
	v_mov_b32_e32 v13, v35
	v_mul_f32_e32 v35, 0xbf5db3d7, v15
	v_fmac_f32_e32 v8, 0.5, v15
	v_pk_mul_f32 v[14:15], v[32:33], 0.5 op_sel_hi:[1,0]
	v_fmac_f32_e32 v35, 0.5, v16
	v_pk_fma_f32 v[14:15], v[32:33], s[4:5], v[14:15] op_sel:[0,0,1] op_sel_hi:[1,1,0] neg_lo:[0,0,1] neg_hi:[0,0,1]
	v_add_f32_e32 v16, v34, v8
	v_add_f32_e32 v17, v9, v35
	v_pk_add_f32 v[32:33], v[12:13], v[14:15]
	v_sub_f32_e32 v8, v34, v8
	v_sub_f32_e32 v9, v9, v35
	ds_write2_b64 v54, v[18:19], v[16:17] offset1:10
	v_pk_add_f32 v[12:13], v[12:13], v[14:15] neg_lo:[0,1] neg_hi:[0,1]
	ds_write2_b64 v54, v[32:33], v[10:11] offset0:20 offset1:30
	ds_write2_b64 v54, v[8:9], v[12:13] offset0:40 offset1:50
	s_and_saveexec_b64 s[10:11], vcc
	s_cbranch_execz .LBB0_23
; %bb.22:
	v_add_u16_e32 v8, 60, v24
	v_mul_lo_u16_sdwa v9, v8, s12 dst_sel:DWORD dst_unused:UNUSED_PAD src0_sel:BYTE_0 src1_sel:DWORD
	v_lshrrev_b16_e32 v19, 11, v9
	v_mul_lo_u16_e32 v9, 10, v19
	v_sub_u16_e32 v33, v8, v9
	v_mul_u32_u24_sdwa v8, v33, v31 dst_sel:DWORD dst_unused:UNUSED_PAD src0_sel:BYTE_0 src1_sel:DWORD
	v_lshlrev_b32_e32 v18, 3, v8
	global_load_dwordx4 v[8:11], v18, s[8:9]
	global_load_dwordx4 v[12:15], v18, s[8:9] offset:16
	global_load_dwordx2 v[16:17], v18, s[8:9] offset:32
	v_mov_b32_e32 v18, v29
	v_mov_b32_e32 v32, v5
	v_mov_b32_e32 v36, v27
	v_mov_b32_e32 v38, v7
	v_mov_b32_e32 v34, v3
	v_mul_u32_u24_e32 v3, 0x1e0, v19
	v_lshlrev_b32_sdwa v5, v25, v33 dst_sel:DWORD dst_unused:UNUSED_PAD src0_sel:DWORD src1_sel:BYTE_0
	v_add3_u32 v25, 0, v3, v5
	s_waitcnt vmcnt(2)
	v_pk_mul_f32 v[18:19], v[18:19], v[10:11] op_sel_hi:[0,1]
	s_waitcnt vmcnt(1)
	v_pk_mul_f32 v[32:33], v[32:33], v[14:15] op_sel_hi:[0,1]
	v_pk_mul_f32 v[36:37], v[36:37], v[12:13] op_sel_hi:[0,1]
	s_waitcnt vmcnt(0)
	v_pk_mul_f32 v[38:39], v[38:39], v[16:17] op_sel_hi:[0,1]
	v_pk_mul_f32 v[34:35], v[34:35], v[8:9] op_sel_hi:[0,1]
	v_pk_fma_f32 v[40:41], v[28:29], v[10:11], v[18:19] op_sel:[0,0,1] op_sel_hi:[1,1,0] neg_lo:[0,0,1] neg_hi:[0,0,1]
	v_pk_fma_f32 v[10:11], v[28:29], v[10:11], v[18:19] op_sel:[0,0,1] op_sel_hi:[0,1,0]
	v_pk_fma_f32 v[18:19], v[4:5], v[14:15], v[32:33] op_sel:[0,0,1] op_sel_hi:[1,1,0] neg_lo:[0,0,1] neg_hi:[0,0,1]
	v_pk_fma_f32 v[4:5], v[4:5], v[14:15], v[32:33] op_sel:[0,0,1] op_sel_hi:[0,1,0]
	;; [unrolled: 2-line block ×5, first 2 shown]
	v_mov_b32_e32 v15, v13
	v_mov_b32_e32 v27, v7
	;; [unrolled: 1-line block ×5, first 2 shown]
	v_pk_add_f32 v[8:9], v[14:15], v[26:27]
	v_pk_add_f32 v[2:3], v[0:1], v[40:41]
	;; [unrolled: 1-line block ×3, first 2 shown]
	v_pk_add_f32 v[6:7], v[14:15], v[26:27] neg_lo:[0,1] neg_hi:[0,1]
	v_pk_add_f32 v[10:11], v[40:41], v[18:19]
	v_pk_add_f32 v[12:13], v[40:41], v[18:19] neg_lo:[0,1] neg_hi:[0,1]
	v_pk_fma_f32 v[8:9], v[8:9], 0.5, v[16:17] op_sel_hi:[1,0,1] neg_lo:[1,0,0] neg_hi:[1,0,0]
	v_pk_add_f32 v[2:3], v[2:3], v[18:19]
	v_pk_add_f32 v[4:5], v[4:5], v[26:27]
	v_pk_fma_f32 v[0:1], v[10:11], 0.5, v[0:1] op_sel_hi:[1,0,1] neg_lo:[1,0,0] neg_hi:[1,0,0]
	v_pk_mul_f32 v[10:11], v[12:13], s[4:5] op_sel_hi:[1,0]
	v_pk_fma_f32 v[14:15], v[6:7], s[4:5], v[8:9] op_sel:[0,0,1] op_sel_hi:[1,0,0]
	v_pk_fma_f32 v[6:7], v[6:7], s[4:5], v[8:9] op_sel:[0,0,1] op_sel_hi:[1,0,0] neg_lo:[1,0,0] neg_hi:[1,0,0]
	v_pk_add_f32 v[12:13], v[2:3], v[4:5]
	v_pk_add_f32 v[8:9], v[0:1], v[10:11] op_sel:[0,1] op_sel_hi:[1,0] neg_lo:[0,1] neg_hi:[0,1]
	v_pk_add_f32 v[0:1], v[0:1], v[10:11] op_sel:[0,1] op_sel_hi:[1,0]
	v_pk_add_f32 v[2:3], v[2:3], v[4:5] neg_lo:[0,1] neg_hi:[0,1]
	v_mov_b32_e32 v4, v14
	v_mov_b32_e32 v5, v7
	v_mov_b32_e32 v10, v8
	v_mov_b32_e32 v11, v1
	v_mul_f32_e32 v1, 0xbf5db3d7, v15
	v_mul_f32_e32 v8, 0x3f5db3d7, v6
	v_pk_mul_f32 v[16:17], v[4:5], 0.5 op_sel_hi:[1,0]
	v_fmac_f32_e32 v1, 0.5, v6
	v_fmac_f32_e32 v8, 0.5, v15
	v_pk_fma_f32 v[4:5], v[4:5], s[4:5], v[16:17] op_sel:[0,0,1] op_sel_hi:[1,1,0] neg_lo:[0,0,1] neg_hi:[0,0,1]
	v_sub_f32_e32 v7, v9, v1
	v_sub_f32_e32 v6, v0, v8
	v_add_f32_e32 v1, v9, v1
	v_add_f32_e32 v0, v0, v8
	v_pk_add_f32 v[8:9], v[10:11], v[4:5]
	ds_write2_b64 v25, v[12:13], v[0:1] offset1:10
	v_pk_add_f32 v[0:1], v[10:11], v[4:5] neg_lo:[0,1] neg_hi:[0,1]
	ds_write2_b64 v25, v[8:9], v[2:3] offset0:20 offset1:30
	ds_write2_b64 v25, v[6:7], v[0:1] offset0:40 offset1:50
.LBB0_23:
	s_or_b64 exec, exec, s[10:11]
	v_mul_u32_u24_e32 v0, 9, v24
	v_lshlrev_b32_e32 v16, 3, v0
	s_waitcnt lgkmcnt(0)
	; wave barrier
	s_waitcnt lgkmcnt(0)
	global_load_dwordx4 v[0:3], v16, s[8:9] offset:400
	global_load_dwordx4 v[4:7], v16, s[8:9] offset:416
	;; [unrolled: 1-line block ×4, first 2 shown]
	global_load_dwordx2 v[44:45], v16, s[8:9] offset:464
	ds_read2_b64 v[16:19], v30 offset1:60
	ds_read2_b64 v[26:29], v30 offset0:120 offset1:180
	v_add_u32_e32 v25, 0x400, v30
	v_add_u32_e32 v31, 0x800, v30
	v_add_u32_e32 v60, 0xc00, v30
	ds_read2_b64 v[32:35], v25 offset0:112 offset1:172
	ds_read2_b64 v[36:39], v31 offset0:104 offset1:164
	ds_read2_b64 v[40:43], v60 offset0:96 offset1:156
	s_mov_b32 s8, 0x3f737871
	s_mov_b32 s4, 0x3f167918
	;; [unrolled: 1-line block ×4, first 2 shown]
	s_waitcnt lgkmcnt(0)
	; wave barrier
	s_waitcnt lgkmcnt(0)
	s_mov_b32 s14, 0xbf737871
	s_mov_b32 s15, s8
	s_waitcnt vmcnt(4)
	v_pk_mul_f32 v[46:47], v[0:1], v[18:19] op_sel:[0,1]
	v_pk_mul_f32 v[48:49], v[2:3], v[26:27] op_sel:[0,1]
	s_waitcnt vmcnt(3)
	v_pk_mul_f32 v[50:51], v[4:5], v[28:29] op_sel:[0,1]
	v_pk_mul_f32 v[52:53], v[6:7], v[32:33] op_sel:[0,1]
	s_waitcnt vmcnt(2)
	v_pk_mul_f32 v[54:55], v[8:9], v[34:35] op_sel:[0,1]
	v_pk_fma_f32 v[58:59], v[0:1], v[18:19], v[46:47] op_sel:[0,0,1] op_sel_hi:[1,1,0] neg_lo:[0,0,1] neg_hi:[0,0,1]
	v_pk_fma_f32 v[0:1], v[0:1], v[18:19], v[46:47] op_sel:[0,0,1] op_sel_hi:[1,0,0]
	v_pk_fma_f32 v[18:19], v[2:3], v[26:27], v[48:49] op_sel:[0,0,1] op_sel_hi:[1,1,0] neg_lo:[0,0,1] neg_hi:[0,0,1]
	v_pk_fma_f32 v[2:3], v[2:3], v[26:27], v[48:49] op_sel:[0,0,1] op_sel_hi:[1,0,0]
	s_waitcnt vmcnt(1)
	v_pk_mul_f32 v[26:27], v[38:39], v[12:13] op_sel:[0,1]
	v_pk_fma_f32 v[46:47], v[4:5], v[28:29], v[50:51] op_sel:[0,0,1] op_sel_hi:[1,1,0] neg_lo:[0,0,1] neg_hi:[0,0,1]
	v_pk_fma_f32 v[4:5], v[4:5], v[28:29], v[50:51] op_sel:[0,0,1] op_sel_hi:[1,0,0]
	v_pk_fma_f32 v[28:29], v[6:7], v[32:33], v[52:53] op_sel:[0,0,1] op_sel_hi:[1,1,0] neg_lo:[0,0,1] neg_hi:[0,0,1]
	v_pk_fma_f32 v[6:7], v[6:7], v[32:33], v[52:53] op_sel:[0,0,1] op_sel_hi:[1,0,0]
	s_waitcnt vmcnt(0)
	v_pk_mul_f32 v[32:33], v[42:43], v[44:45] op_sel:[0,1]
	v_mov_b32_e32 v56, v11
	v_pk_fma_f32 v[48:49], v[8:9], v[34:35], v[54:55] op_sel:[0,0,1] op_sel_hi:[1,1,0] neg_lo:[0,0,1] neg_hi:[0,0,1]
	v_pk_fma_f32 v[8:9], v[8:9], v[34:35], v[54:55] op_sel:[0,0,1] op_sel_hi:[1,0,0]
	v_pk_fma_f32 v[50:51], v[38:39], v[12:13], v[26:27] op_sel:[0,0,1] op_sel_hi:[1,1,0] neg_lo:[0,0,1] neg_hi:[0,0,1]
	v_pk_fma_f32 v[12:13], v[38:39], v[12:13], v[26:27] op_sel:[0,0,1] op_sel_hi:[1,0,0]
	;; [unrolled: 2-line block ×3, first 2 shown]
	v_mov_b32_e32 v0, v15
	v_pk_mul_f32 v[34:35], v[36:37], v[56:57] op_sel_hi:[1,0]
	v_mov_b32_e32 v47, v5
	v_mov_b32_e32 v49, v9
	;; [unrolled: 1-line block ×4, first 2 shown]
	v_pk_mul_f32 v[26:27], v[40:41], v[0:1] op_sel_hi:[1,0]
	v_mov_b32_e32 v59, v1
	v_mov_b32_e32 v19, v3
	v_pk_fma_f32 v[0:1], v[36:37], v[10:11], v[34:35] op_sel:[0,0,1] op_sel_hi:[1,1,0] neg_lo:[0,0,1] neg_hi:[0,0,1]
	v_pk_fma_f32 v[2:3], v[36:37], v[10:11], v[34:35] op_sel:[0,0,1] op_sel_hi:[1,0,0]
	v_pk_add_f32 v[10:11], v[48:49], v[50:51]
	v_pk_add_f32 v[12:13], v[46:47], v[38:39] neg_lo:[0,1] neg_hi:[0,1]
	v_mov_b32_e32 v29, v7
	v_pk_fma_f32 v[4:5], v[40:41], v[14:15], v[26:27] op_sel:[0,0,1] op_sel_hi:[1,1,0] neg_lo:[0,0,1] neg_hi:[0,0,1]
	v_pk_fma_f32 v[6:7], v[40:41], v[14:15], v[26:27] op_sel:[0,0,1] op_sel_hi:[1,0,0]
	v_pk_add_f32 v[14:15], v[48:49], v[50:51] neg_lo:[0,1] neg_hi:[0,1]
	v_pk_add_f32 v[26:27], v[46:47], v[48:49] neg_lo:[0,1] neg_hi:[0,1]
	;; [unrolled: 1-line block ×3, first 2 shown]
	v_pk_fma_f32 v[10:11], v[10:11], 0.5, v[58:59] op_sel_hi:[1,0,1] neg_lo:[1,0,0] neg_hi:[1,0,0]
	v_pk_mul_f32 v[44:45], v[12:13], s[8:9] op_sel_hi:[1,0]
	v_mov_b32_e32 v1, v3
	v_mov_b32_e32 v5, v7
	v_pk_mul_f32 v[52:53], v[14:15], s[4:5] op_sel_hi:[1,0]
	v_pk_add_f32 v[26:27], v[26:27], v[32:33]
	v_pk_add_f32 v[32:33], v[10:11], v[44:45] op_sel:[0,1] op_sel_hi:[1,0]
	v_pk_add_f32 v[10:11], v[10:11], v[44:45] op_sel:[0,1] op_sel_hi:[1,0] neg_lo:[0,1] neg_hi:[0,1]
	v_pk_add_f32 v[34:35], v[28:29], v[0:1]
	v_pk_add_f32 v[36:37], v[18:19], v[4:5] neg_lo:[0,1] neg_hi:[0,1]
	v_pk_add_f32 v[10:11], v[10:11], v[52:53] op_sel:[0,1] op_sel_hi:[1,0] neg_lo:[0,1] neg_hi:[0,1]
	v_pk_add_f32 v[32:33], v[32:33], v[52:53] op_sel:[0,1] op_sel_hi:[1,0]
	v_pk_add_f32 v[8:9], v[18:19], v[28:29] neg_lo:[0,1] neg_hi:[0,1]
	v_pk_add_f32 v[40:41], v[28:29], v[0:1] neg_lo:[0,1] neg_hi:[0,1]
	v_pk_add_f32 v[42:43], v[4:5], v[0:1] neg_lo:[0,1] neg_hi:[0,1]
	v_pk_fma_f32 v[34:35], v[34:35], 0.5, v[16:17] op_sel_hi:[1,0,1] neg_lo:[1,0,0] neg_hi:[1,0,0]
	v_pk_mul_f32 v[54:55], v[36:37], s[8:9] op_sel_hi:[1,0]
	v_mov_b32_e32 v44, v32
	v_mov_b32_e32 v45, v11
	v_pk_add_f32 v[2:3], v[16:17], v[18:19]
	v_pk_add_f32 v[6:7], v[58:59], v[46:47]
	v_pk_mul_f32 v[56:57], v[40:41], s[4:5] op_sel_hi:[1,0]
	v_pk_add_f32 v[8:9], v[8:9], v[42:43]
	v_pk_add_f32 v[42:43], v[34:35], v[54:55] op_sel:[0,1] op_sel_hi:[1,0]
	v_pk_add_f32 v[34:35], v[34:35], v[54:55] op_sel:[0,1] op_sel_hi:[1,0] neg_lo:[0,1] neg_hi:[0,1]
	v_pk_fma_f32 v[44:45], v[26:27], s[10:11], v[44:45] op_sel_hi:[1,0,1]
	v_pk_add_f32 v[2:3], v[2:3], v[28:29]
	v_pk_add_f32 v[6:7], v[6:7], v[48:49]
	v_pk_add_f32 v[34:35], v[34:35], v[56:57] op_sel:[0,1] op_sel_hi:[1,0] neg_lo:[0,1] neg_hi:[0,1]
	v_pk_add_f32 v[42:43], v[42:43], v[56:57] op_sel:[0,1] op_sel_hi:[1,0]
	v_pk_mul_f32 v[52:53], v[44:45], s[4:5] op_sel_hi:[1,0]
	v_pk_add_f32 v[2:3], v[2:3], v[0:1]
	v_pk_add_f32 v[6:7], v[6:7], v[50:51]
	v_pk_fma_f32 v[56:57], v[44:45], s[12:13], v[52:53] op_sel:[0,0,1] op_sel_hi:[1,0,0]
	v_pk_fma_f32 v[44:45], v[44:45], s[12:13], v[52:53] op_sel:[0,0,1] op_sel_hi:[1,0,0] neg_lo:[0,0,1] neg_hi:[0,0,1]
	v_mov_b32_e32 v52, v42
	v_mov_b32_e32 v53, v35
	v_pk_add_f32 v[2:3], v[2:3], v[4:5]
	v_pk_add_f32 v[6:7], v[6:7], v[38:39]
	v_pk_fma_f32 v[52:53], v[8:9], s[10:11], v[52:53] op_sel_hi:[1,0,1]
	v_mov_b32_e32 v57, v45
	v_pk_add_f32 v[54:55], v[2:3], v[6:7]
	v_pk_add_f32 v[44:45], v[52:53], v[56:57]
	ds_write2_b64 v30, v[54:55], v[44:45] offset1:60
	v_pk_add_f32 v[44:45], v[18:19], v[4:5]
	v_pk_add_f32 v[18:19], v[28:29], v[18:19] neg_lo:[0,1] neg_hi:[0,1]
	v_pk_add_f32 v[0:1], v[0:1], v[4:5] neg_lo:[0,1] neg_hi:[0,1]
	;; [unrolled: 1-line block ×3, first 2 shown]
	v_pk_add_f32 v[0:1], v[18:19], v[0:1]
	v_pk_add_f32 v[18:19], v[48:49], v[46:47] neg_lo:[0,1] neg_hi:[0,1]
	v_pk_fma_f32 v[16:17], v[44:45], 0.5, v[16:17] op_sel_hi:[1,0,1] neg_lo:[1,0,0] neg_hi:[1,0,0]
	v_pk_add_f32 v[4:5], v[46:47], v[38:39]
	v_pk_add_f32 v[18:19], v[18:19], v[28:29]
	v_pk_mul_f32 v[28:29], v[40:41], s[8:9] op_sel_hi:[1,0]
	v_pk_fma_f32 v[4:5], v[4:5], 0.5, v[58:59] op_sel_hi:[1,0,1] neg_lo:[1,0,0] neg_hi:[1,0,0]
	v_pk_mul_f32 v[36:37], v[36:37], s[4:5] op_sel_hi:[1,0]
	v_pk_add_f32 v[38:39], v[16:17], v[28:29] op_sel:[0,1] op_sel_hi:[1,0] neg_lo:[0,1] neg_hi:[0,1]
	v_pk_mul_f32 v[14:15], v[14:15], s[8:9] op_sel_hi:[1,0]
	v_pk_add_f32 v[16:17], v[16:17], v[28:29] op_sel:[0,1] op_sel_hi:[1,0]
	v_pk_add_f32 v[28:29], v[38:39], v[36:37] op_sel:[0,1] op_sel_hi:[1,0]
	v_pk_mul_f32 v[12:13], v[12:13], s[4:5] op_sel_hi:[1,0]
	v_pk_add_f32 v[38:39], v[4:5], v[14:15] op_sel:[0,1] op_sel_hi:[1,0] neg_lo:[0,1] neg_hi:[0,1]
	v_pk_add_f32 v[4:5], v[4:5], v[14:15] op_sel:[0,1] op_sel_hi:[1,0]
	v_pk_add_f32 v[16:17], v[16:17], v[36:37] op_sel:[0,1] op_sel_hi:[1,0] neg_lo:[0,1] neg_hi:[0,1]
	v_pk_add_f32 v[4:5], v[4:5], v[12:13] op_sel:[0,1] op_sel_hi:[1,0] neg_lo:[0,1] neg_hi:[0,1]
	v_pk_add_f32 v[12:13], v[38:39], v[12:13] op_sel:[0,1] op_sel_hi:[1,0]
	v_mov_b32_e32 v15, v5
	v_mov_b32_e32 v14, v12
	v_pk_fma_f32 v[14:15], v[18:19], s[10:11], v[14:15] op_sel_hi:[1,0,1]
	v_mov_b32_e32 v5, v13
	v_pk_mul_f32 v[38:39], v[14:15], s[8:9] op_sel_hi:[1,0]
	v_pk_fma_f32 v[4:5], v[18:19], s[10:11], v[4:5] op_sel_hi:[1,0,1]
	v_mov_b32_e32 v36, v28
	v_mov_b32_e32 v37, v17
	v_pk_fma_f32 v[40:41], v[14:15], s[10:11], v[38:39] op_sel:[0,0,1] op_sel_hi:[1,0,0]
	v_pk_fma_f32 v[14:15], v[14:15], s[10:11], v[38:39] op_sel:[0,0,1] op_sel_hi:[1,0,0] neg_lo:[0,0,1] neg_hi:[0,0,1]
	v_mov_b32_e32 v17, v29
	v_pk_mul_f32 v[12:13], v[4:5], s[10:11] op_sel_hi:[1,0]
	v_pk_fma_f32 v[36:37], v[0:1], s[10:11], v[36:37] op_sel_hi:[1,0,1]
	v_mov_b32_e32 v41, v15
	v_pk_fma_f32 v[0:1], v[0:1], s[10:11], v[16:17] op_sel_hi:[1,0,1]
	v_pk_fma_f32 v[4:5], v[4:5], s[14:15], v[12:13] op_sel:[0,0,1] op_sel_hi:[1,1,0] neg_lo:[0,0,1] neg_hi:[0,0,1]
	v_mov_b32_e32 v11, v33
	v_pk_add_f32 v[14:15], v[36:37], v[40:41]
	v_pk_add_f32 v[12:13], v[0:1], v[4:5] op_sel:[0,1] op_sel_hi:[1,0]
	v_pk_fma_f32 v[10:11], v[26:27], s[10:11], v[10:11] op_sel_hi:[1,0,1]
	ds_write2_b64 v30, v[14:15], v[12:13] offset0:120 offset1:180
	v_mov_b32_e32 v35, v43
	s_mov_b32 s8, 0xbf167918
	s_mov_b32 s9, s4
	v_pk_mul_f32 v[12:13], v[10:11], s[12:13] op_sel_hi:[1,0]
	v_pk_fma_f32 v[8:9], v[8:9], s[10:11], v[34:35] op_sel_hi:[1,0,1]
	v_pk_fma_f32 v[10:11], v[10:11], s[8:9], v[12:13] op_sel:[0,0,1] op_sel_hi:[1,1,0] neg_lo:[0,0,1] neg_hi:[0,0,1]
	v_pk_add_f32 v[2:3], v[2:3], v[6:7] neg_lo:[0,1] neg_hi:[0,1]
	v_pk_add_f32 v[12:13], v[8:9], v[10:11] op_sel:[0,1] op_sel_hi:[1,0]
	ds_write2_b64 v25, v[12:13], v[2:3] offset0:112 offset1:172
	v_pk_add_f32 v[2:3], v[52:53], v[56:57] neg_lo:[0,1] neg_hi:[0,1]
	v_pk_add_f32 v[6:7], v[36:37], v[40:41] neg_lo:[0,1] neg_hi:[0,1]
	ds_write2_b64 v31, v[2:3], v[6:7] offset0:104 offset1:164
	v_pk_add_f32 v[0:1], v[0:1], v[4:5] op_sel:[0,1] op_sel_hi:[1,0] neg_lo:[0,1] neg_hi:[0,1]
	v_pk_add_f32 v[2:3], v[8:9], v[10:11] op_sel:[0,1] op_sel_hi:[1,0] neg_lo:[0,1] neg_hi:[0,1]
	ds_write2_b64 v60, v[0:1], v[2:3] offset0:96 offset1:156
	s_waitcnt lgkmcnt(0)
	; wave barrier
	s_waitcnt lgkmcnt(0)
	s_and_saveexec_b64 s[4:5], s[0:1]
	s_cbranch_execz .LBB0_25
; %bb.24:
	v_mul_lo_u32 v0, s3, v22
	v_mul_lo_u32 v1, s2, v23
	v_mad_u64_u32 v[4:5], s[0:1], s2, v22, 0
	v_lshl_add_u32 v10, v24, 3, 0
	v_add3_u32 v5, v5, v1, v0
	ds_read2_b64 v[0:3], v10 offset1:60
	v_lshl_add_u64 v[4:5], v[4:5], 3, s[6:7]
	v_mov_b32_e32 v25, 0
	v_lshl_add_u64 v[8:9], v[20:21], 3, v[4:5]
	v_lshl_add_u64 v[4:5], v[24:25], 3, v[8:9]
	s_waitcnt lgkmcnt(0)
	global_store_dwordx2 v[4:5], v[0:1], off
	ds_read2_b64 v[4:7], v10 offset0:120 offset1:180
	v_add_u32_e32 v0, 60, v24
	v_mov_b32_e32 v1, v25
	v_lshl_add_u64 v[0:1], v[0:1], 3, v[8:9]
	global_store_dwordx2 v[0:1], v[2:3], off
	v_add_u32_e32 v0, 0x78, v24
	v_mov_b32_e32 v1, v25
	v_lshl_add_u64 v[0:1], v[0:1], 3, v[8:9]
	s_waitcnt lgkmcnt(0)
	global_store_dwordx2 v[0:1], v[4:5], off
	v_add_u32_e32 v0, 0xb4, v24
	v_mov_b32_e32 v1, v25
	v_lshl_add_u64 v[4:5], v[0:1], 3, v[8:9]
	v_add_u32_e32 v0, 0x400, v10
	ds_read2_b64 v[0:3], v0 offset0:112 offset1:172
	global_store_dwordx2 v[4:5], v[6:7], off
	v_add_u32_e32 v4, 0xf0, v24
	v_mov_b32_e32 v5, v25
	v_lshl_add_u64 v[4:5], v[4:5], 3, v[8:9]
	s_waitcnt lgkmcnt(0)
	global_store_dwordx2 v[4:5], v[0:1], off
	v_add_u32_e32 v4, 0x800, v10
	ds_read2_b64 v[4:7], v4 offset0:104 offset1:164
	v_add_u32_e32 v0, 0x12c, v24
	v_mov_b32_e32 v1, v25
	v_lshl_add_u64 v[0:1], v[0:1], 3, v[8:9]
	global_store_dwordx2 v[0:1], v[2:3], off
	v_add_u32_e32 v0, 0x168, v24
	v_mov_b32_e32 v1, v25
	v_lshl_add_u64 v[0:1], v[0:1], 3, v[8:9]
	s_waitcnt lgkmcnt(0)
	global_store_dwordx2 v[0:1], v[4:5], off
	v_add_u32_e32 v0, 0x1a4, v24
	v_mov_b32_e32 v1, v25
	v_lshl_add_u64 v[4:5], v[0:1], 3, v[8:9]
	v_add_u32_e32 v0, 0xc00, v10
	ds_read2_b64 v[0:3], v0 offset0:96 offset1:156
	global_store_dwordx2 v[4:5], v[6:7], off
	v_add_u32_e32 v4, 0x1e0, v24
	v_mov_b32_e32 v5, v25
	v_lshl_add_u64 v[4:5], v[4:5], 3, v[8:9]
	v_add_u32_e32 v24, 0x21c, v24
	s_waitcnt lgkmcnt(0)
	global_store_dwordx2 v[4:5], v[0:1], off
	v_lshl_add_u64 v[0:1], v[24:25], 3, v[8:9]
	global_store_dwordx2 v[0:1], v[2:3], off
.LBB0_25:
	s_endpgm
	.section	.rodata,"a",@progbits
	.p2align	6, 0x0
	.amdhsa_kernel fft_rtc_fwd_len600_factors_10_6_10_wgs_60_tpt_60_halfLds_sp_op_CI_CI_unitstride_sbrr_C2R_dirReg
		.amdhsa_group_segment_fixed_size 0
		.amdhsa_private_segment_fixed_size 0
		.amdhsa_kernarg_size 104
		.amdhsa_user_sgpr_count 2
		.amdhsa_user_sgpr_dispatch_ptr 0
		.amdhsa_user_sgpr_queue_ptr 0
		.amdhsa_user_sgpr_kernarg_segment_ptr 1
		.amdhsa_user_sgpr_dispatch_id 0
		.amdhsa_user_sgpr_kernarg_preload_length 0
		.amdhsa_user_sgpr_kernarg_preload_offset 0
		.amdhsa_user_sgpr_private_segment_size 0
		.amdhsa_uses_dynamic_stack 0
		.amdhsa_enable_private_segment 0
		.amdhsa_system_sgpr_workgroup_id_x 1
		.amdhsa_system_sgpr_workgroup_id_y 0
		.amdhsa_system_sgpr_workgroup_id_z 0
		.amdhsa_system_sgpr_workgroup_info 0
		.amdhsa_system_vgpr_workitem_id 0
		.amdhsa_next_free_vgpr 65
		.amdhsa_next_free_sgpr 28
		.amdhsa_accum_offset 68
		.amdhsa_reserve_vcc 1
		.amdhsa_float_round_mode_32 0
		.amdhsa_float_round_mode_16_64 0
		.amdhsa_float_denorm_mode_32 3
		.amdhsa_float_denorm_mode_16_64 3
		.amdhsa_dx10_clamp 1
		.amdhsa_ieee_mode 1
		.amdhsa_fp16_overflow 0
		.amdhsa_tg_split 0
		.amdhsa_exception_fp_ieee_invalid_op 0
		.amdhsa_exception_fp_denorm_src 0
		.amdhsa_exception_fp_ieee_div_zero 0
		.amdhsa_exception_fp_ieee_overflow 0
		.amdhsa_exception_fp_ieee_underflow 0
		.amdhsa_exception_fp_ieee_inexact 0
		.amdhsa_exception_int_div_zero 0
	.end_amdhsa_kernel
	.text
.Lfunc_end0:
	.size	fft_rtc_fwd_len600_factors_10_6_10_wgs_60_tpt_60_halfLds_sp_op_CI_CI_unitstride_sbrr_C2R_dirReg, .Lfunc_end0-fft_rtc_fwd_len600_factors_10_6_10_wgs_60_tpt_60_halfLds_sp_op_CI_CI_unitstride_sbrr_C2R_dirReg
                                        ; -- End function
	.section	.AMDGPU.csdata,"",@progbits
; Kernel info:
; codeLenInByte = 6416
; NumSgprs: 34
; NumVgprs: 65
; NumAgprs: 0
; TotalNumVgprs: 65
; ScratchSize: 0
; MemoryBound: 0
; FloatMode: 240
; IeeeMode: 1
; LDSByteSize: 0 bytes/workgroup (compile time only)
; SGPRBlocks: 4
; VGPRBlocks: 8
; NumSGPRsForWavesPerEU: 34
; NumVGPRsForWavesPerEU: 65
; AccumOffset: 68
; Occupancy: 7
; WaveLimiterHint : 1
; COMPUTE_PGM_RSRC2:SCRATCH_EN: 0
; COMPUTE_PGM_RSRC2:USER_SGPR: 2
; COMPUTE_PGM_RSRC2:TRAP_HANDLER: 0
; COMPUTE_PGM_RSRC2:TGID_X_EN: 1
; COMPUTE_PGM_RSRC2:TGID_Y_EN: 0
; COMPUTE_PGM_RSRC2:TGID_Z_EN: 0
; COMPUTE_PGM_RSRC2:TIDIG_COMP_CNT: 0
; COMPUTE_PGM_RSRC3_GFX90A:ACCUM_OFFSET: 16
; COMPUTE_PGM_RSRC3_GFX90A:TG_SPLIT: 0
	.text
	.p2alignl 6, 3212836864
	.fill 256, 4, 3212836864
	.type	__hip_cuid_7a155c43b41975d8,@object ; @__hip_cuid_7a155c43b41975d8
	.section	.bss,"aw",@nobits
	.globl	__hip_cuid_7a155c43b41975d8
__hip_cuid_7a155c43b41975d8:
	.byte	0                               ; 0x0
	.size	__hip_cuid_7a155c43b41975d8, 1

	.ident	"AMD clang version 19.0.0git (https://github.com/RadeonOpenCompute/llvm-project roc-6.4.0 25133 c7fe45cf4b819c5991fe208aaa96edf142730f1d)"
	.section	".note.GNU-stack","",@progbits
	.addrsig
	.addrsig_sym __hip_cuid_7a155c43b41975d8
	.amdgpu_metadata
---
amdhsa.kernels:
  - .agpr_count:     0
    .args:
      - .actual_access:  read_only
        .address_space:  global
        .offset:         0
        .size:           8
        .value_kind:     global_buffer
      - .offset:         8
        .size:           8
        .value_kind:     by_value
      - .actual_access:  read_only
        .address_space:  global
        .offset:         16
        .size:           8
        .value_kind:     global_buffer
      - .actual_access:  read_only
        .address_space:  global
        .offset:         24
        .size:           8
        .value_kind:     global_buffer
      - .actual_access:  read_only
        .address_space:  global
        .offset:         32
        .size:           8
        .value_kind:     global_buffer
      - .offset:         40
        .size:           8
        .value_kind:     by_value
      - .actual_access:  read_only
        .address_space:  global
        .offset:         48
        .size:           8
        .value_kind:     global_buffer
      - .actual_access:  read_only
        .address_space:  global
        .offset:         56
        .size:           8
        .value_kind:     global_buffer
      - .offset:         64
        .size:           4
        .value_kind:     by_value
      - .actual_access:  read_only
        .address_space:  global
        .offset:         72
        .size:           8
        .value_kind:     global_buffer
      - .actual_access:  read_only
        .address_space:  global
        .offset:         80
        .size:           8
        .value_kind:     global_buffer
      - .actual_access:  read_only
        .address_space:  global
        .offset:         88
        .size:           8
        .value_kind:     global_buffer
      - .actual_access:  write_only
        .address_space:  global
        .offset:         96
        .size:           8
        .value_kind:     global_buffer
    .group_segment_fixed_size: 0
    .kernarg_segment_align: 8
    .kernarg_segment_size: 104
    .language:       OpenCL C
    .language_version:
      - 2
      - 0
    .max_flat_workgroup_size: 60
    .name:           fft_rtc_fwd_len600_factors_10_6_10_wgs_60_tpt_60_halfLds_sp_op_CI_CI_unitstride_sbrr_C2R_dirReg
    .private_segment_fixed_size: 0
    .sgpr_count:     34
    .sgpr_spill_count: 0
    .symbol:         fft_rtc_fwd_len600_factors_10_6_10_wgs_60_tpt_60_halfLds_sp_op_CI_CI_unitstride_sbrr_C2R_dirReg.kd
    .uniform_work_group_size: 1
    .uses_dynamic_stack: false
    .vgpr_count:     65
    .vgpr_spill_count: 0
    .wavefront_size: 64
amdhsa.target:   amdgcn-amd-amdhsa--gfx950
amdhsa.version:
  - 1
  - 2
...

	.end_amdgpu_metadata
